;; amdgpu-corpus repo=ROCm/rocFFT kind=compiled arch=gfx1030 opt=O3
	.text
	.amdgcn_target "amdgcn-amd-amdhsa--gfx1030"
	.amdhsa_code_object_version 6
	.protected	fft_rtc_fwd_len968_factors_2_2_2_11_11_wgs_176_tpt_88_dp_ip_CI_unitstride_sbrr_C2R_dirReg ; -- Begin function fft_rtc_fwd_len968_factors_2_2_2_11_11_wgs_176_tpt_88_dp_ip_CI_unitstride_sbrr_C2R_dirReg
	.globl	fft_rtc_fwd_len968_factors_2_2_2_11_11_wgs_176_tpt_88_dp_ip_CI_unitstride_sbrr_C2R_dirReg
	.p2align	8
	.type	fft_rtc_fwd_len968_factors_2_2_2_11_11_wgs_176_tpt_88_dp_ip_CI_unitstride_sbrr_C2R_dirReg,@function
fft_rtc_fwd_len968_factors_2_2_2_11_11_wgs_176_tpt_88_dp_ip_CI_unitstride_sbrr_C2R_dirReg: ; @fft_rtc_fwd_len968_factors_2_2_2_11_11_wgs_176_tpt_88_dp_ip_CI_unitstride_sbrr_C2R_dirReg
; %bb.0:
	s_clause 0x2
	s_load_dwordx4 s[8:11], s[4:5], 0x0
	s_load_dwordx2 s[2:3], s[4:5], 0x50
	s_load_dwordx2 s[12:13], s[4:5], 0x18
	v_mul_u32_u24_e32 v1, 0x2e9, v0
	v_mov_b32_e32 v3, 0
	v_lshrrev_b32_e32 v9, 16, v1
	v_mov_b32_e32 v1, 0
	v_mov_b32_e32 v6, v3
	v_mov_b32_e32 v2, 0
	v_lshl_add_u32 v5, s6, 1, v9
	s_waitcnt lgkmcnt(0)
	v_cmp_lt_u64_e64 s0, s[10:11], 2
	s_and_b32 vcc_lo, exec_lo, s0
	s_cbranch_vccnz .LBB0_8
; %bb.1:
	s_load_dwordx2 s[0:1], s[4:5], 0x10
	v_mov_b32_e32 v1, 0
	s_add_u32 s6, s12, 8
	v_mov_b32_e32 v2, 0
	s_addc_u32 s7, s13, 0
	s_mov_b64 s[16:17], 1
	s_waitcnt lgkmcnt(0)
	s_add_u32 s14, s0, 8
	s_addc_u32 s15, s1, 0
.LBB0_2:                                ; =>This Inner Loop Header: Depth=1
	s_load_dwordx2 s[18:19], s[14:15], 0x0
                                        ; implicit-def: $vgpr7_vgpr8
	s_mov_b32 s0, exec_lo
	s_waitcnt lgkmcnt(0)
	v_or_b32_e32 v4, s19, v6
	v_cmpx_ne_u64_e32 0, v[3:4]
	s_xor_b32 s1, exec_lo, s0
	s_cbranch_execz .LBB0_4
; %bb.3:                                ;   in Loop: Header=BB0_2 Depth=1
	v_cvt_f32_u32_e32 v4, s18
	v_cvt_f32_u32_e32 v7, s19
	s_sub_u32 s0, 0, s18
	s_subb_u32 s20, 0, s19
	v_fmac_f32_e32 v4, 0x4f800000, v7
	v_rcp_f32_e32 v4, v4
	v_mul_f32_e32 v4, 0x5f7ffffc, v4
	v_mul_f32_e32 v7, 0x2f800000, v4
	v_trunc_f32_e32 v7, v7
	v_fmac_f32_e32 v4, 0xcf800000, v7
	v_cvt_u32_f32_e32 v7, v7
	v_cvt_u32_f32_e32 v4, v4
	v_mul_lo_u32 v8, s0, v7
	v_mul_hi_u32 v10, s0, v4
	v_mul_lo_u32 v11, s20, v4
	v_add_nc_u32_e32 v8, v10, v8
	v_mul_lo_u32 v10, s0, v4
	v_add_nc_u32_e32 v8, v8, v11
	v_mul_hi_u32 v11, v4, v10
	v_mul_lo_u32 v12, v4, v8
	v_mul_hi_u32 v13, v4, v8
	v_mul_hi_u32 v14, v7, v10
	v_mul_lo_u32 v10, v7, v10
	v_mul_hi_u32 v15, v7, v8
	v_mul_lo_u32 v8, v7, v8
	v_add_co_u32 v11, vcc_lo, v11, v12
	v_add_co_ci_u32_e32 v12, vcc_lo, 0, v13, vcc_lo
	v_add_co_u32 v10, vcc_lo, v11, v10
	v_add_co_ci_u32_e32 v10, vcc_lo, v12, v14, vcc_lo
	v_add_co_ci_u32_e32 v11, vcc_lo, 0, v15, vcc_lo
	v_add_co_u32 v8, vcc_lo, v10, v8
	v_add_co_ci_u32_e32 v10, vcc_lo, 0, v11, vcc_lo
	v_add_co_u32 v4, vcc_lo, v4, v8
	v_add_co_ci_u32_e32 v7, vcc_lo, v7, v10, vcc_lo
	v_mul_hi_u32 v8, s0, v4
	v_mul_lo_u32 v11, s20, v4
	v_mul_lo_u32 v10, s0, v7
	v_add_nc_u32_e32 v8, v8, v10
	v_mul_lo_u32 v10, s0, v4
	v_add_nc_u32_e32 v8, v8, v11
	v_mul_hi_u32 v11, v4, v10
	v_mul_lo_u32 v12, v4, v8
	v_mul_hi_u32 v13, v4, v8
	v_mul_hi_u32 v14, v7, v10
	v_mul_lo_u32 v10, v7, v10
	v_mul_hi_u32 v15, v7, v8
	v_mul_lo_u32 v8, v7, v8
	v_add_co_u32 v11, vcc_lo, v11, v12
	v_add_co_ci_u32_e32 v12, vcc_lo, 0, v13, vcc_lo
	v_add_co_u32 v10, vcc_lo, v11, v10
	v_add_co_ci_u32_e32 v10, vcc_lo, v12, v14, vcc_lo
	v_add_co_ci_u32_e32 v11, vcc_lo, 0, v15, vcc_lo
	v_add_co_u32 v8, vcc_lo, v10, v8
	v_add_co_ci_u32_e32 v10, vcc_lo, 0, v11, vcc_lo
	v_add_co_u32 v4, vcc_lo, v4, v8
	v_add_co_ci_u32_e32 v12, vcc_lo, v7, v10, vcc_lo
	v_mul_hi_u32 v14, v5, v4
	v_mad_u64_u32 v[10:11], null, v6, v4, 0
	v_mad_u64_u32 v[7:8], null, v5, v12, 0
	;; [unrolled: 1-line block ×3, first 2 shown]
	v_add_co_u32 v4, vcc_lo, v14, v7
	v_add_co_ci_u32_e32 v7, vcc_lo, 0, v8, vcc_lo
	v_add_co_u32 v4, vcc_lo, v4, v10
	v_add_co_ci_u32_e32 v4, vcc_lo, v7, v11, vcc_lo
	v_add_co_ci_u32_e32 v7, vcc_lo, 0, v13, vcc_lo
	v_add_co_u32 v4, vcc_lo, v4, v12
	v_add_co_ci_u32_e32 v10, vcc_lo, 0, v7, vcc_lo
	v_mul_lo_u32 v11, s19, v4
	v_mad_u64_u32 v[7:8], null, s18, v4, 0
	v_mul_lo_u32 v12, s18, v10
	v_sub_co_u32 v7, vcc_lo, v5, v7
	v_add3_u32 v8, v8, v12, v11
	v_sub_nc_u32_e32 v11, v6, v8
	v_subrev_co_ci_u32_e64 v11, s0, s19, v11, vcc_lo
	v_add_co_u32 v12, s0, v4, 2
	v_add_co_ci_u32_e64 v13, s0, 0, v10, s0
	v_sub_co_u32 v14, s0, v7, s18
	v_sub_co_ci_u32_e32 v8, vcc_lo, v6, v8, vcc_lo
	v_subrev_co_ci_u32_e64 v11, s0, 0, v11, s0
	v_cmp_le_u32_e32 vcc_lo, s18, v14
	v_cmp_eq_u32_e64 s0, s19, v8
	v_cndmask_b32_e64 v14, 0, -1, vcc_lo
	v_cmp_le_u32_e32 vcc_lo, s19, v11
	v_cndmask_b32_e64 v15, 0, -1, vcc_lo
	v_cmp_le_u32_e32 vcc_lo, s18, v7
	;; [unrolled: 2-line block ×3, first 2 shown]
	v_cndmask_b32_e64 v16, 0, -1, vcc_lo
	v_cmp_eq_u32_e32 vcc_lo, s19, v11
	v_cndmask_b32_e64 v7, v16, v7, s0
	v_cndmask_b32_e32 v11, v15, v14, vcc_lo
	v_add_co_u32 v14, vcc_lo, v4, 1
	v_add_co_ci_u32_e32 v15, vcc_lo, 0, v10, vcc_lo
	v_cmp_ne_u32_e32 vcc_lo, 0, v11
	v_cndmask_b32_e32 v8, v15, v13, vcc_lo
	v_cndmask_b32_e32 v11, v14, v12, vcc_lo
	v_cmp_ne_u32_e32 vcc_lo, 0, v7
	v_cndmask_b32_e32 v8, v10, v8, vcc_lo
	v_cndmask_b32_e32 v7, v4, v11, vcc_lo
.LBB0_4:                                ;   in Loop: Header=BB0_2 Depth=1
	s_andn2_saveexec_b32 s0, s1
	s_cbranch_execz .LBB0_6
; %bb.5:                                ;   in Loop: Header=BB0_2 Depth=1
	v_cvt_f32_u32_e32 v4, s18
	s_sub_i32 s1, 0, s18
	v_rcp_iflag_f32_e32 v4, v4
	v_mul_f32_e32 v4, 0x4f7ffffe, v4
	v_cvt_u32_f32_e32 v4, v4
	v_mul_lo_u32 v7, s1, v4
	v_mul_hi_u32 v7, v4, v7
	v_add_nc_u32_e32 v4, v4, v7
	v_mul_hi_u32 v4, v5, v4
	v_mul_lo_u32 v7, v4, s18
	v_add_nc_u32_e32 v8, 1, v4
	v_sub_nc_u32_e32 v7, v5, v7
	v_subrev_nc_u32_e32 v10, s18, v7
	v_cmp_le_u32_e32 vcc_lo, s18, v7
	v_cndmask_b32_e32 v7, v7, v10, vcc_lo
	v_cndmask_b32_e32 v4, v4, v8, vcc_lo
	v_cmp_le_u32_e32 vcc_lo, s18, v7
	v_add_nc_u32_e32 v8, 1, v4
	v_cndmask_b32_e32 v7, v4, v8, vcc_lo
	v_mov_b32_e32 v8, v3
.LBB0_6:                                ;   in Loop: Header=BB0_2 Depth=1
	s_or_b32 exec_lo, exec_lo, s0
	s_load_dwordx2 s[0:1], s[6:7], 0x0
	v_mul_lo_u32 v4, v8, s18
	v_mul_lo_u32 v12, v7, s19
	v_mad_u64_u32 v[10:11], null, v7, s18, 0
	s_add_u32 s16, s16, 1
	s_addc_u32 s17, s17, 0
	s_add_u32 s6, s6, 8
	s_addc_u32 s7, s7, 0
	;; [unrolled: 2-line block ×3, first 2 shown]
	v_add3_u32 v4, v11, v12, v4
	v_sub_co_u32 v5, vcc_lo, v5, v10
	v_sub_co_ci_u32_e32 v4, vcc_lo, v6, v4, vcc_lo
	s_waitcnt lgkmcnt(0)
	v_mul_lo_u32 v6, s1, v5
	v_mul_lo_u32 v4, s0, v4
	v_mad_u64_u32 v[1:2], null, s0, v5, v[1:2]
	v_cmp_ge_u64_e64 s0, s[16:17], s[10:11]
	s_and_b32 vcc_lo, exec_lo, s0
	v_add3_u32 v2, v6, v2, v4
	s_cbranch_vccnz .LBB0_9
; %bb.7:                                ;   in Loop: Header=BB0_2 Depth=1
	v_mov_b32_e32 v5, v7
	v_mov_b32_e32 v6, v8
	s_branch .LBB0_2
.LBB0_8:
	v_mov_b32_e32 v8, v6
	v_mov_b32_e32 v7, v5
.LBB0_9:
	s_lshl_b64 s[0:1], s[10:11], 3
	v_and_b32_e32 v6, 1, v9
	s_add_u32 s0, s12, s0
	s_addc_u32 s1, s13, s1
	v_mul_hi_u32 v3, 0x2e8ba2f, v0
	s_load_dwordx2 s[0:1], s[0:1], 0x0
	s_load_dwordx2 s[4:5], s[4:5], 0x20
	v_cmp_eq_u32_e32 vcc_lo, 1, v6
	v_cndmask_b32_e64 v10, 0, 0x3c9, vcc_lo
	v_mul_u32_u24_e32 v3, 0x58, v3
	v_lshlrev_b32_e32 v90, 4, v10
	v_sub_nc_u32_e32 v84, v0, v3
	s_waitcnt lgkmcnt(0)
	v_mul_lo_u32 v4, s0, v8
	v_mul_lo_u32 v5, s1, v7
	v_mad_u64_u32 v[1:2], null, s0, v7, v[1:2]
	v_cmp_gt_u64_e32 vcc_lo, s[4:5], v[7:8]
	v_add3_u32 v2, v5, v2, v4
	v_lshlrev_b64 v[86:87], 4, v[1:2]
	s_and_saveexec_b32 s1, vcc_lo
	s_cbranch_execz .LBB0_13
; %bb.10:
	v_mov_b32_e32 v85, 0
	v_add_co_u32 v0, s0, s2, v86
	v_add_co_ci_u32_e64 v1, s0, s3, v87, s0
	v_lshlrev_b64 v[2:3], 4, v[84:85]
	s_mov_b32 s4, exec_lo
	v_add_co_u32 v7, s0, v0, v2
	v_add_co_ci_u32_e64 v8, s0, v1, v3, s0
	v_lshlrev_b32_e32 v2, 4, v84
	v_add_co_u32 v15, s0, 0x800, v7
	v_add_co_ci_u32_e64 v16, s0, 0, v8, s0
	v_add_co_u32 v23, s0, 0x1000, v7
	v_add_co_ci_u32_e64 v24, s0, 0, v8, s0
	;; [unrolled: 2-line block ×5, first 2 shown]
	s_clause 0x3
	global_load_dwordx4 v[3:6], v[7:8], off
	global_load_dwordx4 v[11:14], v[7:8], off offset:1408
	global_load_dwordx4 v[15:18], v[15:16], off offset:768
	;; [unrolled: 1-line block ×3, first 2 shown]
	v_add_co_u32 v7, s0, 0x3000, v7
	v_add_co_ci_u32_e64 v8, s0, 0, v8, s0
	s_clause 0x6
	global_load_dwordx4 v[23:26], v[23:24], off offset:1536
	global_load_dwordx4 v[27:30], v[27:28], off offset:896
	;; [unrolled: 1-line block ×7, first 2 shown]
	v_add3_u32 v2, 0, v90, v2
	s_waitcnt vmcnt(10)
	ds_write_b128 v2, v[3:6]
	s_waitcnt vmcnt(9)
	ds_write_b128 v2, v[11:14] offset:1408
	s_waitcnt vmcnt(8)
	ds_write_b128 v2, v[15:18] offset:2816
	;; [unrolled: 2-line block ×10, first 2 shown]
	v_cmpx_eq_u32_e32 0x57, v84
	s_cbranch_execz .LBB0_12
; %bb.11:
	v_add_co_u32 v0, s0, 0x3800, v0
	v_add_co_ci_u32_e64 v1, s0, 0, v1, s0
	v_mov_b32_e32 v84, 0x57
	global_load_dwordx4 v[3:6], v[0:1], off offset:1152
	s_waitcnt vmcnt(0)
	ds_write_b128 v2, v[3:6] offset:14096
.LBB0_12:
	s_or_b32 exec_lo, exec_lo, s4
.LBB0_13:
	s_or_b32 exec_lo, exec_lo, s1
	v_lshl_add_u32 v88, v10, 4, 0
	v_lshlrev_b32_e32 v11, 4, v84
	s_waitcnt lgkmcnt(0)
	s_barrier
	buffer_gl0_inv
	s_add_u32 s1, s8, 0x3c60
	v_add_nc_u32_e32 v89, v88, v11
	v_sub_nc_u32_e32 v12, v88, v11
	s_addc_u32 s4, s9, 0
	s_mov_b32 s5, exec_lo
	ds_read_b64 v[6:7], v89
	ds_read_b64 v[8:9], v12 offset:15488
                                        ; implicit-def: $vgpr4_vgpr5
	s_waitcnt lgkmcnt(0)
	v_add_f64 v[0:1], v[6:7], v[8:9]
	v_add_f64 v[2:3], v[6:7], -v[8:9]
	v_cmpx_ne_u32_e32 0, v84
	s_xor_b32 s5, exec_lo, s5
	s_cbranch_execz .LBB0_15
; %bb.14:
	v_mov_b32_e32 v85, 0
	v_add_f64 v[15:16], v[6:7], v[8:9]
	v_add_f64 v[17:18], v[6:7], -v[8:9]
	v_lshlrev_b64 v[0:1], 4, v[84:85]
	v_add_co_u32 v0, s0, s1, v0
	v_add_co_ci_u32_e64 v1, s0, s4, v1, s0
	global_load_dwordx4 v[2:5], v[0:1], off
	ds_read_b64 v[0:1], v12 offset:15496
	ds_read_b64 v[13:14], v89 offset:8
	s_waitcnt lgkmcnt(0)
	v_add_f64 v[6:7], v[0:1], v[13:14]
	v_add_f64 v[0:1], v[13:14], -v[0:1]
	s_waitcnt vmcnt(0)
	v_fma_f64 v[8:9], v[17:18], v[4:5], v[15:16]
	v_fma_f64 v[13:14], -v[17:18], v[4:5], v[15:16]
	v_fma_f64 v[15:16], v[6:7], v[4:5], -v[0:1]
	v_fma_f64 v[4:5], v[6:7], v[4:5], v[0:1]
	v_fma_f64 v[0:1], -v[6:7], v[2:3], v[8:9]
	v_fma_f64 v[6:7], v[6:7], v[2:3], v[13:14]
	v_fma_f64 v[8:9], v[17:18], v[2:3], v[15:16]
	v_fma_f64 v[2:3], v[17:18], v[2:3], v[4:5]
	v_mov_b32_e32 v4, v84
	v_mov_b32_e32 v5, v85
	ds_write_b128 v12, v[6:9] offset:15488
.LBB0_15:
	s_andn2_saveexec_b32 s0, s5
	s_cbranch_execz .LBB0_17
; %bb.16:
	ds_read_b128 v[4:7], v88 offset:7744
	s_waitcnt lgkmcnt(0)
	v_add_f64 v[13:14], v[4:5], v[4:5]
	v_mul_f64 v[15:16], v[6:7], -2.0
	v_mov_b32_e32 v4, 0
	v_mov_b32_e32 v5, 0
	ds_write_b128 v88, v[13:16] offset:7744
.LBB0_17:
	s_or_b32 exec_lo, exec_lo, s0
	v_lshlrev_b64 v[4:5], 4, v[4:5]
	ds_write_b128 v89, v[0:3]
	v_add_co_u32 v4, s0, s1, v4
	v_add_co_ci_u32_e64 v5, s0, s4, v5, s0
	v_add_co_u32 v13, s0, 0x800, v4
	global_load_dwordx4 v[6:9], v[4:5], off offset:1408
	v_add_co_ci_u32_e64 v14, s0, 0, v5, s0
	v_add_co_u32 v25, s0, 0x1000, v4
	v_add_co_ci_u32_e64 v26, s0, 0, v5, s0
	global_load_dwordx4 v[13:16], v[13:14], off offset:768
	v_cmp_gt_u32_e64 s0, 44, v84
	global_load_dwordx4 v[17:20], v[25:26], off offset:128
	ds_read_b128 v[0:3], v89 offset:1408
	ds_read_b128 v[21:24], v12 offset:14080
	global_load_dwordx4 v[25:28], v[25:26], off offset:1536
	s_waitcnt lgkmcnt(0)
	v_add_f64 v[29:30], v[0:1], v[21:22]
	v_add_f64 v[31:32], v[23:24], v[2:3]
	v_add_f64 v[33:34], v[0:1], -v[21:22]
	v_add_f64 v[0:1], v[2:3], -v[23:24]
	s_waitcnt vmcnt(3)
	v_fma_f64 v[2:3], v[33:34], v[8:9], v[29:30]
	v_fma_f64 v[21:22], v[31:32], v[8:9], v[0:1]
	v_fma_f64 v[23:24], -v[33:34], v[8:9], v[29:30]
	v_fma_f64 v[8:9], v[31:32], v[8:9], -v[0:1]
	v_fma_f64 v[0:1], -v[31:32], v[6:7], v[2:3]
	v_fma_f64 v[2:3], v[33:34], v[6:7], v[21:22]
	v_fma_f64 v[21:22], v[31:32], v[6:7], v[23:24]
	v_fma_f64 v[23:24], v[33:34], v[6:7], v[8:9]
	ds_write_b128 v89, v[0:3] offset:1408
	ds_write_b128 v12, v[21:24] offset:14080
	ds_read_b128 v[0:3], v89 offset:2816
	ds_read_b128 v[6:9], v12 offset:12672
	s_waitcnt lgkmcnt(0)
	v_add_f64 v[21:22], v[0:1], v[6:7]
	v_add_f64 v[23:24], v[8:9], v[2:3]
	v_add_f64 v[29:30], v[0:1], -v[6:7]
	v_add_f64 v[0:1], v[2:3], -v[8:9]
	s_waitcnt vmcnt(2)
	v_fma_f64 v[2:3], v[29:30], v[15:16], v[21:22]
	v_fma_f64 v[6:7], v[23:24], v[15:16], v[0:1]
	v_fma_f64 v[8:9], -v[29:30], v[15:16], v[21:22]
	v_fma_f64 v[15:16], v[23:24], v[15:16], -v[0:1]
	v_fma_f64 v[0:1], -v[23:24], v[13:14], v[2:3]
	v_fma_f64 v[2:3], v[29:30], v[13:14], v[6:7]
	v_fma_f64 v[6:7], v[23:24], v[13:14], v[8:9]
	v_fma_f64 v[8:9], v[29:30], v[13:14], v[15:16]
	ds_write_b128 v89, v[0:3] offset:2816
	ds_write_b128 v12, v[6:9] offset:12672
	ds_read_b128 v[0:3], v89 offset:4224
	ds_read_b128 v[6:9], v12 offset:11264
	;; [unrolled: 18-line block ×3, first 2 shown]
	s_waitcnt lgkmcnt(0)
	v_add_f64 v[13:14], v[0:1], v[6:7]
	v_add_f64 v[15:16], v[8:9], v[2:3]
	v_add_f64 v[17:18], v[0:1], -v[6:7]
	v_add_f64 v[0:1], v[2:3], -v[8:9]
	s_waitcnt vmcnt(0)
	v_fma_f64 v[2:3], v[17:18], v[27:28], v[13:14]
	v_fma_f64 v[6:7], v[15:16], v[27:28], v[0:1]
	v_fma_f64 v[8:9], -v[17:18], v[27:28], v[13:14]
	v_fma_f64 v[13:14], v[15:16], v[27:28], -v[0:1]
	v_fma_f64 v[0:1], -v[15:16], v[25:26], v[2:3]
	v_fma_f64 v[2:3], v[17:18], v[25:26], v[6:7]
	v_fma_f64 v[6:7], v[15:16], v[25:26], v[8:9]
	;; [unrolled: 1-line block ×3, first 2 shown]
	ds_write_b128 v89, v[0:3] offset:5632
	ds_write_b128 v12, v[6:9] offset:9856
	s_and_saveexec_b32 s4, s0
	s_cbranch_execz .LBB0_19
; %bb.18:
	v_add_co_u32 v0, s1, 0x1800, v4
	v_add_co_ci_u32_e64 v1, s1, 0, v5, s1
	global_load_dwordx4 v[0:3], v[0:1], off offset:896
	ds_read_b128 v[4:7], v89 offset:7040
	ds_read_b128 v[13:16], v12 offset:8448
	s_waitcnt lgkmcnt(0)
	v_add_f64 v[8:9], v[4:5], v[13:14]
	v_add_f64 v[17:18], v[15:16], v[6:7]
	v_add_f64 v[13:14], v[4:5], -v[13:14]
	v_add_f64 v[4:5], v[6:7], -v[15:16]
	s_waitcnt vmcnt(0)
	v_fma_f64 v[6:7], v[13:14], v[2:3], v[8:9]
	v_fma_f64 v[15:16], v[17:18], v[2:3], v[4:5]
	v_fma_f64 v[8:9], -v[13:14], v[2:3], v[8:9]
	v_fma_f64 v[19:20], v[17:18], v[2:3], -v[4:5]
	v_fma_f64 v[2:3], -v[17:18], v[0:1], v[6:7]
	v_fma_f64 v[4:5], v[13:14], v[0:1], v[15:16]
	v_fma_f64 v[6:7], v[17:18], v[0:1], v[8:9]
	;; [unrolled: 1-line block ×3, first 2 shown]
	ds_write_b128 v89, v[2:5] offset:7040
	ds_write_b128 v12, v[6:9] offset:8448
.LBB0_19:
	s_or_b32 exec_lo, exec_lo, s4
	v_add_nc_u32_e32 v8, 0, v11
	s_waitcnt lgkmcnt(0)
	s_barrier
	buffer_gl0_inv
	v_add_nc_u32_e32 v85, v8, v90
	s_barrier
	buffer_gl0_inv
	v_add_nc_u32_e32 v52, 0x160, v84
	v_add_nc_u32_e32 v8, v8, v11
	ds_read_b128 v[0:3], v85 offset:7744
	ds_read_b128 v[4:7], v89
	ds_read_b128 v[12:15], v85 offset:1408
	ds_read_b128 v[16:19], v85 offset:9152
	;; [unrolled: 1-line block ×10, first 2 shown]
	s_waitcnt lgkmcnt(0)
	s_barrier
	buffer_gl0_inv
	v_add_f64 v[53:54], v[4:5], -v[0:1]
	v_add_f64 v[55:56], v[6:7], -v[2:3]
	v_add_f64 v[16:17], v[12:13], -v[16:17]
	v_add_f64 v[18:19], v[14:15], -v[18:19]
	v_add_f64 v[20:21], v[24:25], -v[20:21]
	v_add_f64 v[22:23], v[26:27], -v[22:23]
	v_add_f64 v[32:33], v[28:29], -v[32:33]
	v_add_f64 v[34:35], v[30:31], -v[34:35]
	v_add_f64 v[36:37], v[40:41], -v[36:37]
	v_add_f64 v[38:39], v[42:43], -v[38:39]
	v_add_f64 v[0:1], v[44:45], -v[48:49]
	v_add_f64 v[2:3], v[46:47], -v[50:51]
	v_add_nc_u32_e32 v49, 0x58, v84
	v_add_nc_u32_e32 v50, 0xb0, v84
	;; [unrolled: 1-line block ×4, first 2 shown]
	v_lshlrev_b32_e32 v9, 5, v49
	v_add3_u32 v9, 0, v9, v90
	v_fma_f64 v[57:58], v[4:5], 2.0, -v[53:54]
	v_fma_f64 v[59:60], v[6:7], 2.0, -v[55:56]
	;; [unrolled: 1-line block ×12, first 2 shown]
	v_lshlrev_b32_e32 v44, 5, v50
	v_lshlrev_b32_e32 v45, 5, v51
	;; [unrolled: 1-line block ×3, first 2 shown]
	v_add_nc_u32_e32 v47, v8, v90
	v_add3_u32 v44, 0, v44, v90
	v_add3_u32 v45, 0, v45, v90
	;; [unrolled: 1-line block ×3, first 2 shown]
	ds_write_b128 v47, v[53:56] offset:16
	ds_write_b128 v9, v[16:19] offset:16
	;; [unrolled: 1-line block ×4, first 2 shown]
	ds_write_b128 v47, v[57:60]
	ds_write_b128 v9, v[12:15]
	;; [unrolled: 1-line block ×5, first 2 shown]
	ds_write_b128 v46, v[36:39] offset:16
	s_and_saveexec_b32 s1, s0
	s_cbranch_execz .LBB0_21
; %bb.20:
	v_lshlrev_b32_e32 v9, 5, v48
	v_add3_u32 v9, 0, v9, v90
	ds_write_b128 v9, v[4:7]
	ds_write_b128 v9, v[0:3] offset:16
.LBB0_21:
	s_or_b32 exec_lo, exec_lo, s1
	v_sub_nc_u32_e32 v8, v8, v11
	s_waitcnt lgkmcnt(0)
	s_barrier
	buffer_gl0_inv
	v_lshlrev_b32_e32 v55, 1, v49
	v_lshl_add_u32 v91, v10, 4, v8
	ds_read_b128 v[8:11], v89
	ds_read_b128 v[28:31], v85 offset:7744
	ds_read_b128 v[32:35], v85 offset:9152
	;; [unrolled: 1-line block ×9, first 2 shown]
	v_lshlrev_b32_e32 v54, 1, v50
	v_lshlrev_b32_e32 v53, 1, v51
	;; [unrolled: 1-line block ×3, first 2 shown]
	s_and_saveexec_b32 s1, s0
	s_cbranch_execz .LBB0_23
; %bb.22:
	ds_read_b128 v[4:7], v91 offset:7040
	ds_read_b128 v[0:3], v85 offset:14784
.LBB0_23:
	s_or_b32 exec_lo, exec_lo, s1
	v_and_b32_e32 v49, 1, v84
	v_lshlrev_b32_e32 v50, 4, v49
	global_load_dwordx4 v[56:59], v50, s[8:9]
	s_waitcnt vmcnt(0) lgkmcnt(0)
	s_barrier
	buffer_gl0_inv
	v_mul_f64 v[50:51], v[30:31], v[58:59]
	v_mul_f64 v[60:61], v[28:29], v[58:59]
	;; [unrolled: 1-line block ×12, first 2 shown]
	v_fma_f64 v[28:29], v[28:29], v[56:57], -v[50:51]
	v_fma_f64 v[30:31], v[30:31], v[56:57], v[60:61]
	v_fma_f64 v[32:33], v[32:33], v[56:57], -v[62:63]
	v_fma_f64 v[34:35], v[34:35], v[56:57], v[64:65]
	;; [unrolled: 2-line block ×6, first 2 shown]
	v_lshlrev_b32_e32 v57, 1, v84
	v_lshlrev_b32_e32 v56, 1, v48
	v_and_or_b32 v58, 0x3fc, v53, v49
	v_and_or_b32 v59, 0x3fc, v52, v49
	;; [unrolled: 1-line block ×3, first 2 shown]
	v_lshlrev_b32_e32 v58, 4, v58
	v_lshlrev_b32_e32 v59, 4, v59
	;; [unrolled: 1-line block ×3, first 2 shown]
	v_add_f64 v[28:29], v[8:9], -v[28:29]
	v_add_f64 v[30:31], v[10:11], -v[30:31]
	;; [unrolled: 1-line block ×12, first 2 shown]
	v_and_or_b32 v50, 0x1fc, v55, v49
	v_and_or_b32 v51, 0x3fc, v54, v49
	v_add3_u32 v48, 0, v48, v90
	v_add3_u32 v58, 0, v58, v90
	;; [unrolled: 1-line block ×3, first 2 shown]
	v_lshlrev_b32_e32 v50, 4, v50
	v_lshlrev_b32_e32 v51, 4, v51
	v_add3_u32 v50, 0, v50, v90
	v_fma_f64 v[8:9], v[8:9], 2.0, -v[28:29]
	v_fma_f64 v[10:11], v[10:11], 2.0, -v[30:31]
	;; [unrolled: 1-line block ×12, first 2 shown]
	v_add3_u32 v51, 0, v51, v90
	ds_write_b128 v48, v[28:31] offset:32
	ds_write_b128 v48, v[8:11]
	ds_write_b128 v50, v[24:27]
	ds_write_b128 v50, v[32:35] offset:32
	ds_write_b128 v51, v[20:23]
	ds_write_b128 v51, v[36:39] offset:32
	;; [unrolled: 2-line block ×4, first 2 shown]
	s_and_saveexec_b32 s1, s0
	s_cbranch_execz .LBB0_25
; %bb.24:
	v_and_or_b32 v8, 0x3fc, v56, v49
	v_lshlrev_b32_e32 v8, 4, v8
	v_add3_u32 v8, 0, v8, v90
	ds_write_b128 v8, v[4:7]
	ds_write_b128 v8, v[0:3] offset:32
.LBB0_25:
	s_or_b32 exec_lo, exec_lo, s1
	s_waitcnt lgkmcnt(0)
	s_barrier
	buffer_gl0_inv
	ds_read_b128 v[8:11], v89
	ds_read_b128 v[32:35], v85 offset:7744
	ds_read_b128 v[12:15], v91 offset:1408
	;; [unrolled: 1-line block ×9, first 2 shown]
	s_and_saveexec_b32 s1, s0
	s_cbranch_execz .LBB0_27
; %bb.26:
	ds_read_b128 v[4:7], v85 offset:7040
	ds_read_b128 v[0:3], v85 offset:14784
.LBB0_27:
	s_or_b32 exec_lo, exec_lo, s1
	v_and_b32_e32 v58, 3, v84
	v_lshlrev_b32_e32 v28, 4, v58
	v_and_or_b32 v57, 0xf8, v57, v58
	v_and_or_b32 v55, 0x1f8, v55, v58
	;; [unrolled: 1-line block ×4, first 2 shown]
	global_load_dwordx4 v[28:31], v28, s[8:9] offset:32
	v_and_or_b32 v52, 0x3f8, v52, v58
	v_lshlrev_b32_e32 v57, 4, v57
	v_lshlrev_b32_e32 v55, 4, v55
	;; [unrolled: 1-line block ×5, first 2 shown]
	v_add3_u32 v57, 0, v57, v90
	v_add3_u32 v55, 0, v55, v90
	;; [unrolled: 1-line block ×3, first 2 shown]
	s_waitcnt vmcnt(0) lgkmcnt(0)
	s_barrier
	buffer_gl0_inv
	v_add3_u32 v53, 0, v53, v90
	v_add3_u32 v52, 0, v52, v90
	v_mul_f64 v[59:60], v[34:35], v[30:31]
	v_mul_f64 v[61:62], v[32:33], v[30:31]
	;; [unrolled: 1-line block ×10, first 2 shown]
	v_fma_f64 v[32:33], v[32:33], v[28:29], -v[59:60]
	v_fma_f64 v[34:35], v[34:35], v[28:29], v[61:62]
	v_fma_f64 v[40:41], v[40:41], v[28:29], -v[63:64]
	v_fma_f64 v[42:43], v[42:43], v[28:29], v[65:66]
	;; [unrolled: 2-line block ×5, first 2 shown]
	v_add_f64 v[32:33], v[8:9], -v[32:33]
	v_add_f64 v[34:35], v[10:11], -v[34:35]
	;; [unrolled: 1-line block ×10, first 2 shown]
	v_fma_f64 v[8:9], v[8:9], 2.0, -v[32:33]
	v_fma_f64 v[10:11], v[10:11], 2.0, -v[34:35]
	;; [unrolled: 1-line block ×10, first 2 shown]
	ds_write_b128 v57, v[32:35] offset:64
	ds_write_b128 v57, v[8:11]
	ds_write_b128 v55, v[12:15]
	ds_write_b128 v55, v[36:39] offset:64
	ds_write_b128 v54, v[16:19]
	ds_write_b128 v54, v[40:43] offset:64
	;; [unrolled: 2-line block ×4, first 2 shown]
	s_and_saveexec_b32 s1, s0
	s_cbranch_execz .LBB0_29
; %bb.28:
	v_mul_f64 v[8:9], v[0:1], v[30:31]
	v_mul_f64 v[10:11], v[2:3], v[30:31]
	v_fma_f64 v[2:3], v[2:3], v[28:29], v[8:9]
	v_fma_f64 v[0:1], v[0:1], v[28:29], -v[10:11]
	v_and_or_b32 v8, 0x3f8, v56, v58
	v_lshlrev_b32_e32 v8, 4, v8
	v_add3_u32 v8, 0, v8, v90
	v_add_f64 v[2:3], v[6:7], -v[2:3]
	v_add_f64 v[0:1], v[4:5], -v[0:1]
	v_fma_f64 v[6:7], v[6:7], 2.0, -v[2:3]
	v_fma_f64 v[4:5], v[4:5], 2.0, -v[0:1]
	ds_write_b128 v8, v[4:7]
	ds_write_b128 v8, v[0:3] offset:64
.LBB0_29:
	s_or_b32 exec_lo, exec_lo, s1
	v_and_b32_e32 v92, 7, v84
	s_waitcnt lgkmcnt(0)
	s_barrier
	buffer_gl0_inv
	v_lshrrev_b32_e32 v113, 3, v84
	v_mul_u32_u24_e32 v0, 10, v92
	s_mov_b32 s12, 0xf8bb580b
	s_mov_b32 s13, 0xbfe14ced
	;; [unrolled: 1-line block ×4, first 2 shown]
	v_lshlrev_b32_e32 v8, 4, v0
	s_mov_b32 s16, 0x43842ef
	s_mov_b32 s17, 0xbfefac9e
	;; [unrolled: 1-line block ×4, first 2 shown]
	s_clause 0x9
	global_load_dwordx4 v[0:3], v8, s[8:9] offset:96
	global_load_dwordx4 v[28:31], v8, s[8:9] offset:240
	global_load_dwordx4 v[24:27], v8, s[8:9] offset:112
	global_load_dwordx4 v[20:23], v8, s[8:9] offset:128
	global_load_dwordx4 v[4:7], v8, s[8:9] offset:144
	global_load_dwordx4 v[36:39], v8, s[8:9] offset:224
	global_load_dwordx4 v[32:35], v8, s[8:9] offset:208
	global_load_dwordx4 v[16:19], v8, s[8:9] offset:192
	global_load_dwordx4 v[12:15], v8, s[8:9] offset:160
	global_load_dwordx4 v[8:11], v8, s[8:9] offset:176
	ds_read_b128 v[52:55], v91 offset:1408
	ds_read_b128 v[48:51], v85 offset:14080
	;; [unrolled: 1-line block ×10, first 2 shown]
	ds_read_b128 v[68:71], v89
	s_mov_b32 s22, 0xfd768dbf
	s_mov_b32 s23, 0xbfd207e7
	;; [unrolled: 1-line block ×20, first 2 shown]
	s_waitcnt vmcnt(0) lgkmcnt(0)
	s_barrier
	buffer_gl0_inv
	v_mul_f64 v[93:94], v[54:55], v[2:3]
	v_mul_f64 v[2:3], v[52:53], v[2:3]
	v_mul_f64 v[95:96], v[48:49], v[30:31]
	v_mul_f64 v[30:31], v[50:51], v[30:31]
	v_mul_f64 v[97:98], v[42:43], v[26:27]
	v_mul_f64 v[103:104], v[76:77], v[38:39]
	v_mul_f64 v[38:39], v[78:79], v[38:39]
	v_mul_f64 v[26:27], v[40:41], v[26:27]
	v_mul_f64 v[99:100], v[46:47], v[22:23]
	v_mul_f64 v[22:23], v[44:45], v[22:23]
	v_mul_f64 v[101:102], v[60:61], v[6:7]
	v_mul_f64 v[105:106], v[72:73], v[34:35]
	v_mul_f64 v[34:35], v[74:75], v[34:35]
	v_mul_f64 v[107:108], v[64:65], v[18:19]
	v_mul_f64 v[6:7], v[62:63], v[6:7]
	v_mul_f64 v[109:110], v[82:83], v[14:15]
	v_mul_f64 v[18:19], v[66:67], v[18:19]
	v_mul_f64 v[14:15], v[80:81], v[14:15]
	v_mul_f64 v[111:112], v[58:59], v[10:11]
	v_mul_f64 v[10:11], v[56:57], v[10:11]
	v_fma_f64 v[52:53], v[52:53], v[0:1], -v[93:94]
	v_fma_f64 v[0:1], v[54:55], v[0:1], v[2:3]
	v_fma_f64 v[50:51], v[50:51], v[28:29], v[95:96]
	v_fma_f64 v[48:49], v[48:49], v[28:29], -v[30:31]
	v_fma_f64 v[2:3], v[40:41], v[24:25], -v[97:98]
	v_fma_f64 v[28:29], v[78:79], v[36:37], v[103:104]
	v_fma_f64 v[30:31], v[76:77], v[36:37], -v[38:39]
	v_mul_u32_u24_e32 v38, 0x58, v113
	v_fma_f64 v[24:25], v[42:43], v[24:25], v[26:27]
	v_fma_f64 v[26:27], v[44:45], v[20:21], -v[99:100]
	v_fma_f64 v[20:21], v[46:47], v[20:21], v[22:23]
	v_fma_f64 v[22:23], v[62:63], v[4:5], v[101:102]
	;; [unrolled: 1-line block ×3, first 2 shown]
	v_fma_f64 v[32:33], v[72:73], v[32:33], -v[34:35]
	v_fma_f64 v[34:35], v[66:67], v[16:17], v[107:108]
	v_fma_f64 v[4:5], v[60:61], v[4:5], -v[6:7]
	v_fma_f64 v[6:7], v[64:65], v[16:17], -v[18:19]
	;; [unrolled: 1-line block ×3, first 2 shown]
	v_fma_f64 v[12:13], v[82:83], v[12:13], v[14:15]
	v_or_b32_e32 v242, v38, v92
	v_fma_f64 v[10:11], v[58:59], v[8:9], v[10:11]
	v_fma_f64 v[8:9], v[56:57], v[8:9], -v[111:112]
	v_add_f64 v[14:15], v[0:1], -v[50:51]
	v_add_f64 v[18:19], v[52:53], -v[48:49]
	v_add_f64 v[38:39], v[52:53], v[48:49]
	v_add_f64 v[40:41], v[0:1], v[50:51]
	;; [unrolled: 1-line block ×4, first 2 shown]
	v_add_f64 v[44:45], v[2:3], -v[30:31]
	v_add_f64 v[58:59], v[2:3], v[30:31]
	v_add_f64 v[42:43], v[24:25], -v[28:29]
	v_add_f64 v[60:61], v[24:25], v[28:29]
	v_add_f64 v[46:47], v[20:21], -v[36:37]
	v_add_f64 v[54:55], v[26:27], -v[32:33]
	;; [unrolled: 1-line block ×3, first 2 shown]
	v_add_f64 v[62:63], v[26:27], v[32:33]
	v_add_f64 v[72:73], v[4:5], -v[6:7]
	v_add_f64 v[64:65], v[20:21], v[36:37]
	v_add_f64 v[66:67], v[4:5], v[6:7]
	;; [unrolled: 1-line block ×3, first 2 shown]
	v_add_f64 v[76:77], v[12:13], -v[10:11]
	v_add_f64 v[80:81], v[16:17], -v[8:9]
	v_add_f64 v[78:79], v[16:17], v[8:9]
	v_add_f64 v[82:83], v[12:13], v[10:11]
	v_mul_f64 v[92:93], v[14:15], s[12:13]
	v_mul_f64 v[94:95], v[18:19], s[12:13]
	;; [unrolled: 1-line block ×4, first 2 shown]
	v_add_f64 v[2:3], v[52:53], v[2:3]
	v_add_f64 v[0:1], v[0:1], v[24:25]
	v_mul_f64 v[100:101], v[14:15], s[16:17]
	v_mul_f64 v[102:103], v[18:19], s[16:17]
	;; [unrolled: 1-line block ×16, first 2 shown]
	v_fma_f64 v[168:169], v[38:39], s[0:1], -v[92:93]
	v_fma_f64 v[170:171], v[40:41], s[0:1], v[94:95]
	v_mul_f64 v[122:123], v[44:45], s[24:25]
	v_mul_f64 v[124:125], v[44:45], s[26:27]
	v_add_f64 v[2:3], v[2:3], v[26:27]
	v_add_f64 v[0:1], v[0:1], v[20:21]
	v_mul_f64 v[44:45], v[44:45], s[28:29]
	v_mul_f64 v[126:127], v[46:47], s[24:25]
	;; [unrolled: 1-line block ×20, first 2 shown]
	v_add_f64 v[2:3], v[2:3], v[4:5]
	v_add_f64 v[0:1], v[0:1], v[22:23]
	v_mul_f64 v[156:157], v[76:77], s[20:21]
	v_mul_f64 v[158:159], v[76:77], s[30:31]
	;; [unrolled: 1-line block ×8, first 2 shown]
	v_fma_f64 v[92:93], v[38:39], s[0:1], v[92:93]
	v_fma_f64 v[94:95], v[40:41], s[0:1], -v[94:95]
	v_fma_f64 v[172:173], v[38:39], s[4:5], -v[96:97]
	v_fma_f64 v[174:175], v[40:41], s[4:5], v[98:99]
	v_fma_f64 v[176:177], v[38:39], s[6:7], -v[100:101]
	v_fma_f64 v[178:179], v[40:41], s[6:7], v[102:103]
	v_fma_f64 v[96:97], v[38:39], s[4:5], v[96:97]
	;; [unrolled: 1-line block ×3, first 2 shown]
	v_fma_f64 v[180:181], v[38:39], s[10:11], -v[104:105]
	v_fma_f64 v[182:183], v[40:41], s[10:11], v[106:107]
	v_fma_f64 v[184:185], v[38:39], s[14:15], -v[14:15]
	v_fma_f64 v[186:187], v[40:41], s[14:15], v[18:19]
	v_fma_f64 v[14:15], v[38:39], s[14:15], v[14:15]
	v_fma_f64 v[18:19], v[40:41], s[14:15], -v[18:19]
	v_fma_f64 v[104:105], v[38:39], s[10:11], v[104:105]
	v_fma_f64 v[106:107], v[40:41], s[10:11], -v[106:107]
	v_fma_f64 v[102:103], v[40:41], s[6:7], -v[102:103]
	;; [unrolled: 1-line block ×3, first 2 shown]
	v_add_f64 v[2:3], v[2:3], v[16:17]
	v_add_f64 v[0:1], v[0:1], v[12:13]
	v_fma_f64 v[38:39], v[58:59], s[4:5], -v[108:109]
	v_fma_f64 v[40:41], v[60:61], s[4:5], v[110:111]
	v_add_f64 v[12:13], v[68:69], v[168:169]
	v_add_f64 v[16:17], v[70:71], v[170:171]
	v_fma_f64 v[188:189], v[62:63], s[6:7], -v[112:113]
	v_fma_f64 v[190:191], v[64:65], s[6:7], v[114:115]
	v_fma_f64 v[192:193], v[66:67], s[10:11], -v[116:117]
	v_fma_f64 v[20:21], v[58:59], s[4:5], v[108:109]
	;; [unrolled: 2-line block ×24, first 2 shown]
	v_fma_f64 v[66:67], v[74:75], s[10:11], v[144:145]
	v_fma_f64 v[144:145], v[74:75], s[10:11], -v[144:145]
	v_fma_f64 v[222:223], v[74:75], s[6:7], v[146:147]
	v_fma_f64 v[146:147], v[74:75], s[6:7], -v[146:147]
	v_fma_f64 v[224:225], v[74:75], s[0:1], v[148:149]
	v_fma_f64 v[148:149], v[74:75], s[0:1], -v[148:149]
	v_fma_f64 v[226:227], v[74:75], s[14:15], v[150:151]
	v_fma_f64 v[150:151], v[74:75], s[14:15], -v[150:151]
	v_fma_f64 v[228:229], v[74:75], s[4:5], v[72:73]
	v_fma_f64 v[72:73], v[74:75], s[4:5], -v[72:73]
	v_fma_f64 v[4:5], v[78:79], s[14:15], -v[152:153]
	v_fma_f64 v[22:23], v[78:79], s[14:15], v[152:153]
	v_fma_f64 v[74:75], v[78:79], s[0:1], -v[154:155]
	v_fma_f64 v[152:153], v[78:79], s[0:1], v[154:155]
	;; [unrolled: 2-line block ×5, first 2 shown]
	v_fma_f64 v[78:79], v[82:83], s[14:15], v[160:161]
	v_fma_f64 v[160:161], v[82:83], s[14:15], -v[160:161]
	v_fma_f64 v[234:235], v[82:83], s[0:1], v[162:163]
	v_fma_f64 v[162:163], v[82:83], s[0:1], -v[162:163]
	v_fma_f64 v[236:237], v[82:83], s[10:11], v[164:165]
	v_fma_f64 v[164:165], v[82:83], s[10:11], -v[164:165]
	v_fma_f64 v[238:239], v[82:83], s[4:5], v[166:167]
	v_fma_f64 v[166:167], v[82:83], s[4:5], -v[166:167]
	v_fma_f64 v[240:241], v[82:83], s[6:7], v[80:81]
	v_fma_f64 v[80:81], v[82:83], s[6:7], -v[80:81]
	v_add_f64 v[82:83], v[68:69], v[92:93]
	v_add_f64 v[92:93], v[70:71], v[94:95]
	;; [unrolled: 1-line block ×108, first 2 shown]
	v_lshlrev_b32_e32 v44, 4, v242
	v_mul_u32_u24_e32 v45, 10, v84
	v_add3_u32 v44, 0, v44, v90
	v_lshlrev_b32_e32 v48, 4, v45
	ds_write_b128 v44, v[0:3] offset:128
	ds_write_b128 v44, v[8:11] offset:256
	;; [unrolled: 1-line block ×10, first 2 shown]
	ds_write_b128 v44, v[40:43]
	s_waitcnt lgkmcnt(0)
	s_barrier
	buffer_gl0_inv
	s_clause 0x9
	global_load_dwordx4 v[4:7], v48, s[8:9] offset:1376
	global_load_dwordx4 v[8:11], v48, s[8:9] offset:1520
	;; [unrolled: 1-line block ×10, first 2 shown]
	ds_read_b128 v[40:43], v91 offset:1408
	ds_read_b128 v[52:55], v85 offset:14080
	;; [unrolled: 1-line block ×10, first 2 shown]
	ds_read_b128 v[0:3], v89
	s_waitcnt vmcnt(0) lgkmcnt(0)
	s_barrier
	buffer_gl0_inv
	v_mul_f64 v[28:29], v[42:43], v[6:7]
	v_mul_f64 v[6:7], v[40:41], v[6:7]
	v_mul_f64 v[34:35], v[52:53], v[10:11]
	v_mul_f64 v[10:11], v[54:55], v[10:11]
	v_mul_f64 v[94:95], v[56:57], v[14:15]
	v_mul_f64 v[96:97], v[60:61], v[18:19]
	v_mul_f64 v[14:15], v[58:59], v[14:15]
	v_mul_f64 v[18:19], v[62:63], v[18:19]
	v_mul_f64 v[98:99], v[66:67], v[22:23]
	v_mul_f64 v[22:23], v[64:65], v[22:23]
	v_mul_f64 v[110:111], v[90:91], v[50:51]
	v_mul_f64 v[50:51], v[92:93], v[50:51]
	v_mul_f64 v[100:101], v[68:69], v[26:27]
	v_mul_f64 v[26:27], v[70:71], v[26:27]
	v_mul_f64 v[108:109], v[82:83], v[46:47]
	v_mul_f64 v[46:47], v[80:81], v[46:47]
	v_mul_f64 v[102:103], v[74:75], v[32:33]
	v_mul_f64 v[104:105], v[72:73], v[32:33]
	v_mul_f64 v[106:107], v[76:77], v[38:39]
	v_mul_f64 v[38:39], v[78:79], v[38:39]
	v_fma_f64 v[112:113], v[40:41], v[4:5], -v[28:29]
	v_fma_f64 v[114:115], v[42:43], v[4:5], v[6:7]
	v_fma_f64 v[4:5], v[54:55], v[8:9], v[34:35]
	v_fma_f64 v[6:7], v[52:53], v[8:9], -v[10:11]
	v_fma_f64 v[40:41], v[58:59], v[12:13], v[94:95]
	v_fma_f64 v[8:9], v[62:63], v[16:17], v[96:97]
	v_fma_f64 v[42:43], v[56:57], v[12:13], -v[14:15]
	v_fma_f64 v[10:11], v[60:61], v[16:17], -v[18:19]
	;; [unrolled: 1-line block ×3, first 2 shown]
	v_fma_f64 v[34:35], v[66:67], v[20:21], v[22:23]
	v_fma_f64 v[20:21], v[92:93], v[48:49], v[110:111]
	v_fma_f64 v[22:23], v[90:91], v[48:49], -v[50:51]
	v_fma_f64 v[12:13], v[70:71], v[24:25], v[100:101]
	v_fma_f64 v[14:15], v[68:69], v[24:25], -v[26:27]
	v_fma_f64 v[24:25], v[80:81], v[44:45], -v[108:109]
	v_fma_f64 v[26:27], v[82:83], v[44:45], v[46:47]
	v_fma_f64 v[28:29], v[72:73], v[30:31], -v[102:103]
	v_fma_f64 v[30:31], v[74:75], v[30:31], v[104:105]
	v_fma_f64 v[16:17], v[78:79], v[36:37], v[106:107]
	v_fma_f64 v[18:19], v[76:77], v[36:37], -v[38:39]
	v_add_f64 v[50:51], v[0:1], v[112:113]
	v_add_f64 v[52:53], v[2:3], v[114:115]
	v_add_f64 v[46:47], v[114:115], -v[4:5]
	v_add_f64 v[44:45], v[112:113], -v[6:7]
	v_add_f64 v[38:39], v[112:113], v[6:7]
	v_add_f64 v[48:49], v[40:41], -v[8:9]
	v_add_f64 v[58:59], v[40:41], v[8:9]
	v_add_f64 v[54:55], v[42:43], v[10:11]
	v_add_f64 v[56:57], v[42:43], -v[10:11]
	v_add_f64 v[36:37], v[114:115], v[4:5]
	v_add_f64 v[60:61], v[34:35], -v[12:13]
	;; [unrolled: 2-line block ×4, first 2 shown]
	v_add_f64 v[80:81], v[24:25], -v[22:23]
	v_add_f64 v[68:69], v[30:31], -v[16:17]
	;; [unrolled: 1-line block ×3, first 2 shown]
	v_add_f64 v[70:71], v[28:29], v[18:19]
	v_add_f64 v[74:75], v[30:31], v[16:17]
	;; [unrolled: 1-line block ×4, first 2 shown]
	v_mul_f64 v[89:90], v[46:47], s[12:13]
	v_mul_f64 v[91:92], v[44:45], s[12:13]
	v_mul_f64 v[93:94], v[46:47], s[18:19]
	v_mul_f64 v[95:96], v[44:45], s[18:19]
	v_mul_f64 v[97:98], v[46:47], s[16:17]
	v_mul_f64 v[99:100], v[44:45], s[16:17]
	v_mul_f64 v[101:102], v[46:47], s[20:21]
	v_mul_f64 v[103:104], v[44:45], s[20:21]
	v_mul_f64 v[46:47], v[46:47], s[22:23]
	v_mul_f64 v[44:45], v[44:45], s[22:23]
	v_mul_f64 v[105:106], v[48:49], s[18:19]
	v_mul_f64 v[107:108], v[48:49], s[20:21]
	v_mul_f64 v[109:110], v[48:49], s[24:25]
	v_mul_f64 v[111:112], v[48:49], s[26:27]
	v_mul_f64 v[48:49], v[48:49], s[28:29]
	v_mul_f64 v[50:51], v[56:57], s[18:19]
	v_add_f64 v[78:79], v[24:25], v[22:23]
	v_add_f64 v[82:83], v[26:27], v[20:21]
	v_mul_f64 v[52:53], v[56:57], s[20:21]
	v_mul_f64 v[113:114], v[56:57], s[24:25]
	v_add_f64 v[32:33], v[42:43], v[32:33]
	v_add_f64 v[34:35], v[40:41], v[34:35]
	v_fma_f64 v[165:166], v[38:39], s[0:1], -v[89:90]
	v_fma_f64 v[167:168], v[36:37], s[0:1], v[91:92]
	v_mul_f64 v[115:116], v[56:57], s[26:27]
	v_mul_f64 v[56:57], v[56:57], s[28:29]
	;; [unrolled: 1-line block ×18, first 2 shown]
	v_add_f64 v[28:29], v[32:33], v[28:29]
	v_add_f64 v[30:31], v[34:35], v[30:31]
	v_mul_f64 v[143:144], v[72:73], s[26:27]
	v_mul_f64 v[145:146], v[72:73], s[12:13]
	;; [unrolled: 1-line block ×14, first 2 shown]
	v_fma_f64 v[89:90], v[38:39], s[0:1], v[89:90]
	v_fma_f64 v[91:92], v[36:37], s[0:1], -v[91:92]
	v_fma_f64 v[169:170], v[38:39], s[4:5], -v[93:94]
	v_fma_f64 v[171:172], v[36:37], s[4:5], v[95:96]
	v_fma_f64 v[93:94], v[38:39], s[4:5], v[93:94]
	v_fma_f64 v[173:174], v[38:39], s[6:7], -v[97:98]
	v_fma_f64 v[175:176], v[36:37], s[6:7], v[99:100]
	v_fma_f64 v[97:98], v[38:39], s[6:7], v[97:98]
	;; [unrolled: 3-line block ×4, first 2 shown]
	v_fma_f64 v[95:96], v[36:37], s[4:5], -v[95:96]
	v_fma_f64 v[99:100], v[36:37], s[6:7], -v[99:100]
	;; [unrolled: 1-line block ×4, first 2 shown]
	v_add_f64 v[24:25], v[28:29], v[24:25]
	v_add_f64 v[26:27], v[30:31], v[26:27]
	v_fma_f64 v[44:45], v[54:55], s[4:5], -v[105:106]
	v_fma_f64 v[105:106], v[54:55], s[4:5], v[105:106]
	v_fma_f64 v[183:184], v[54:55], s[10:11], -v[107:108]
	v_fma_f64 v[107:108], v[54:55], s[10:11], v[107:108]
	;; [unrolled: 2-line block ×5, first 2 shown]
	v_fma_f64 v[54:55], v[58:59], s[4:5], v[50:51]
	v_add_f64 v[28:29], v[0:1], v[165:166]
	v_add_f64 v[30:31], v[2:3], v[167:168]
	v_fma_f64 v[50:51], v[58:59], s[4:5], -v[50:51]
	v_fma_f64 v[191:192], v[58:59], s[10:11], v[52:53]
	v_fma_f64 v[52:53], v[58:59], s[10:11], -v[52:53]
	v_fma_f64 v[193:194], v[58:59], s[14:15], v[113:114]
	v_fma_f64 v[113:114], v[58:59], s[14:15], -v[113:114]
	v_fma_f64 v[195:196], v[58:59], s[6:7], v[115:116]
	v_fma_f64 v[115:116], v[58:59], s[6:7], -v[115:116]
	v_fma_f64 v[197:198], v[58:59], s[0:1], v[56:57]
	v_fma_f64 v[56:57], v[58:59], s[0:1], -v[56:57]
	v_fma_f64 v[58:59], v[62:63], s[6:7], -v[117:118]
	v_fma_f64 v[117:118], v[62:63], s[6:7], v[117:118]
	v_fma_f64 v[199:200], v[62:63], s[14:15], -v[119:120]
	v_fma_f64 v[119:120], v[62:63], s[14:15], v[119:120]
	v_fma_f64 v[201:202], v[62:63], s[4:5], -v[121:122]
	v_fma_f64 v[121:122], v[62:63], s[4:5], v[121:122]
	v_fma_f64 v[203:204], v[62:63], s[0:1], -v[123:124]
	v_fma_f64 v[123:124], v[62:63], s[0:1], v[123:124]
	v_fma_f64 v[205:206], v[62:63], s[10:11], -v[60:61]
	v_fma_f64 v[60:61], v[62:63], s[10:11], v[60:61]
	v_fma_f64 v[40:41], v[66:67], s[6:7], v[125:126]
	v_fma_f64 v[42:43], v[66:67], s[6:7], -v[125:126]
	v_fma_f64 v[62:63], v[66:67], s[14:15], v[127:128]
	v_fma_f64 v[125:126], v[66:67], s[14:15], -v[127:128]
	v_fma_f64 v[127:128], v[66:67], s[4:5], v[129:130]
	v_fma_f64 v[129:130], v[66:67], s[4:5], -v[129:130]
	v_fma_f64 v[207:208], v[66:67], s[0:1], v[131:132]
	v_fma_f64 v[131:132], v[66:67], s[0:1], -v[131:132]
	v_fma_f64 v[209:210], v[66:67], s[10:11], v[64:65]
	v_fma_f64 v[64:65], v[66:67], s[10:11], -v[64:65]
	v_fma_f64 v[66:67], v[70:71], s[10:11], -v[133:134]
	v_fma_f64 v[133:134], v[70:71], s[10:11], v[133:134]
	v_fma_f64 v[211:212], v[70:71], s[6:7], -v[135:136]
	v_fma_f64 v[135:136], v[70:71], s[6:7], v[135:136]
	v_fma_f64 v[213:214], v[70:71], s[0:1], -v[137:138]
	v_fma_f64 v[137:138], v[70:71], s[0:1], v[137:138]
	v_fma_f64 v[215:216], v[70:71], s[14:15], -v[139:140]
	v_fma_f64 v[139:140], v[70:71], s[14:15], v[139:140]
	v_fma_f64 v[217:218], v[70:71], s[4:5], -v[68:69]
	v_fma_f64 v[68:69], v[70:71], s[4:5], v[68:69]
	v_fma_f64 v[70:71], v[74:75], s[10:11], v[141:142]
	;; [unrolled: 20-line block ×3, first 2 shown]
	v_fma_f64 v[157:158], v[82:83], s[14:15], -v[157:158]
	v_fma_f64 v[231:232], v[82:83], s[0:1], v[159:160]
	v_fma_f64 v[159:160], v[82:83], s[0:1], -v[159:160]
	v_fma_f64 v[233:234], v[82:83], s[10:11], v[161:162]
	v_fma_f64 v[161:162], v[82:83], s[10:11], -v[161:162]
	v_fma_f64 v[235:236], v[82:83], s[4:5], v[163:164]
	v_fma_f64 v[163:164], v[82:83], s[4:5], -v[163:164]
	v_fma_f64 v[237:238], v[82:83], s[6:7], v[80:81]
	v_fma_f64 v[80:81], v[82:83], s[6:7], -v[80:81]
	v_add_f64 v[82:83], v[0:1], v[89:90]
	v_add_f64 v[89:90], v[2:3], v[91:92]
	;; [unrolled: 1-line block ×108, first 2 shown]
	ds_write_b128 v85, v[0:3] offset:1408
	ds_write_b128 v85, v[12:15] offset:2816
	;; [unrolled: 1-line block ×10, first 2 shown]
	ds_write_b128 v85, v[44:47]
	s_waitcnt lgkmcnt(0)
	s_barrier
	buffer_gl0_inv
	s_and_saveexec_b32 s0, vcc_lo
	s_cbranch_execz .LBB0_31
; %bb.30:
	v_lshl_add_u32 v28, v84, 4, v88
	v_mov_b32_e32 v85, 0
	v_add_nc_u32_e32 v8, 0x58, v84
	v_add_co_u32 v30, vcc_lo, s2, v86
	ds_read_b128 v[0:3], v28
	ds_read_b128 v[4:7], v28 offset:1408
	v_mov_b32_e32 v9, v85
	v_lshlrev_b64 v[10:11], 4, v[84:85]
	v_add_co_ci_u32_e32 v31, vcc_lo, s3, v87, vcc_lo
	v_add_nc_u32_e32 v12, 0xb0, v84
	v_lshlrev_b64 v[8:9], 4, v[8:9]
	v_mov_b32_e32 v13, v85
	v_add_co_u32 v10, vcc_lo, v30, v10
	v_add_co_ci_u32_e32 v11, vcc_lo, v31, v11, vcc_lo
	v_add_co_u32 v8, vcc_lo, v30, v8
	v_add_co_ci_u32_e32 v9, vcc_lo, v31, v9, vcc_lo
	v_lshlrev_b64 v[12:13], 4, v[12:13]
	v_add_nc_u32_e32 v14, 0x108, v84
	v_mov_b32_e32 v15, v85
	v_add_nc_u32_e32 v22, 0x1b8, v84
	s_waitcnt lgkmcnt(1)
	global_store_dwordx4 v[10:11], v[0:3], off
	s_waitcnt lgkmcnt(0)
	global_store_dwordx4 v[8:9], v[4:7], off
	v_add_nc_u32_e32 v8, 0x160, v84
	v_mov_b32_e32 v9, v85
	ds_read_b128 v[0:3], v28 offset:2816
	ds_read_b128 v[4:7], v28 offset:4224
	v_add_co_u32 v16, vcc_lo, v30, v12
	v_add_co_ci_u32_e32 v17, vcc_lo, v31, v13, vcc_lo
	v_lshlrev_b64 v[18:19], 4, v[14:15]
	v_lshlrev_b64 v[20:21], 4, v[8:9]
	ds_read_b128 v[8:11], v28 offset:5632
	ds_read_b128 v[12:15], v28 offset:7040
	v_mov_b32_e32 v23, v85
	v_add_nc_u32_e32 v24, 0x210, v84
	v_mov_b32_e32 v25, v85
	v_add_co_u32 v18, vcc_lo, v30, v18
	v_lshlrev_b64 v[22:23], 4, v[22:23]
	v_add_co_ci_u32_e32 v19, vcc_lo, v31, v19, vcc_lo
	v_add_co_u32 v20, vcc_lo, v30, v20
	v_add_co_ci_u32_e32 v21, vcc_lo, v31, v21, vcc_lo
	v_add_co_u32 v22, vcc_lo, v30, v22
	s_waitcnt lgkmcnt(3)
	global_store_dwordx4 v[16:17], v[0:3], off
	s_waitcnt lgkmcnt(2)
	global_store_dwordx4 v[18:19], v[4:7], off
	v_add_nc_u32_e32 v2, 0x268, v84
	v_mov_b32_e32 v3, v85
	v_add_co_ci_u32_e32 v23, vcc_lo, v31, v23, vcc_lo
	v_lshlrev_b64 v[0:1], 4, v[24:25]
	s_waitcnt lgkmcnt(1)
	global_store_dwordx4 v[20:21], v[8:11], off
	s_waitcnt lgkmcnt(0)
	global_store_dwordx4 v[22:23], v[12:15], off
	v_lshlrev_b64 v[8:9], 4, v[2:3]
	v_add_nc_u32_e32 v10, 0x2c0, v84
	v_mov_b32_e32 v11, v85
	v_add_co_u32 v20, vcc_lo, v30, v0
	v_add_co_ci_u32_e32 v21, vcc_lo, v31, v1, vcc_lo
	v_add_co_u32 v22, vcc_lo, v30, v8
	ds_read_b128 v[0:3], v28 offset:8448
	ds_read_b128 v[4:7], v28 offset:9856
	v_add_co_ci_u32_e32 v23, vcc_lo, v31, v9, vcc_lo
	v_lshlrev_b64 v[26:27], 4, v[10:11]
	ds_read_b128 v[8:11], v28 offset:11264
	ds_read_b128 v[12:15], v28 offset:12672
	;; [unrolled: 1-line block ×3, first 2 shown]
	v_add_nc_u32_e32 v24, 0x318, v84
	v_add_nc_u32_e32 v84, 0x370, v84
	v_add_co_u32 v26, vcc_lo, v30, v26
	v_lshlrev_b64 v[24:25], 4, v[24:25]
	v_lshlrev_b64 v[28:29], 4, v[84:85]
	v_add_co_ci_u32_e32 v27, vcc_lo, v31, v27, vcc_lo
	v_add_co_u32 v24, vcc_lo, v30, v24
	v_add_co_ci_u32_e32 v25, vcc_lo, v31, v25, vcc_lo
	v_add_co_u32 v28, vcc_lo, v30, v28
	v_add_co_ci_u32_e32 v29, vcc_lo, v31, v29, vcc_lo
	s_waitcnt lgkmcnt(4)
	global_store_dwordx4 v[20:21], v[0:3], off
	s_waitcnt lgkmcnt(3)
	global_store_dwordx4 v[22:23], v[4:7], off
	s_waitcnt lgkmcnt(2)
	global_store_dwordx4 v[26:27], v[8:11], off
	s_waitcnt lgkmcnt(1)
	global_store_dwordx4 v[24:25], v[12:15], off
	s_waitcnt lgkmcnt(0)
	global_store_dwordx4 v[28:29], v[16:19], off
.LBB0_31:
	s_endpgm
	.section	.rodata,"a",@progbits
	.p2align	6, 0x0
	.amdhsa_kernel fft_rtc_fwd_len968_factors_2_2_2_11_11_wgs_176_tpt_88_dp_ip_CI_unitstride_sbrr_C2R_dirReg
		.amdhsa_group_segment_fixed_size 0
		.amdhsa_private_segment_fixed_size 0
		.amdhsa_kernarg_size 88
		.amdhsa_user_sgpr_count 6
		.amdhsa_user_sgpr_private_segment_buffer 1
		.amdhsa_user_sgpr_dispatch_ptr 0
		.amdhsa_user_sgpr_queue_ptr 0
		.amdhsa_user_sgpr_kernarg_segment_ptr 1
		.amdhsa_user_sgpr_dispatch_id 0
		.amdhsa_user_sgpr_flat_scratch_init 0
		.amdhsa_user_sgpr_private_segment_size 0
		.amdhsa_wavefront_size32 1
		.amdhsa_uses_dynamic_stack 0
		.amdhsa_system_sgpr_private_segment_wavefront_offset 0
		.amdhsa_system_sgpr_workgroup_id_x 1
		.amdhsa_system_sgpr_workgroup_id_y 0
		.amdhsa_system_sgpr_workgroup_id_z 0
		.amdhsa_system_sgpr_workgroup_info 0
		.amdhsa_system_vgpr_workitem_id 0
		.amdhsa_next_free_vgpr 243
		.amdhsa_next_free_sgpr 32
		.amdhsa_reserve_vcc 1
		.amdhsa_reserve_flat_scratch 0
		.amdhsa_float_round_mode_32 0
		.amdhsa_float_round_mode_16_64 0
		.amdhsa_float_denorm_mode_32 3
		.amdhsa_float_denorm_mode_16_64 3
		.amdhsa_dx10_clamp 1
		.amdhsa_ieee_mode 1
		.amdhsa_fp16_overflow 0
		.amdhsa_workgroup_processor_mode 1
		.amdhsa_memory_ordered 1
		.amdhsa_forward_progress 0
		.amdhsa_shared_vgpr_count 0
		.amdhsa_exception_fp_ieee_invalid_op 0
		.amdhsa_exception_fp_denorm_src 0
		.amdhsa_exception_fp_ieee_div_zero 0
		.amdhsa_exception_fp_ieee_overflow 0
		.amdhsa_exception_fp_ieee_underflow 0
		.amdhsa_exception_fp_ieee_inexact 0
		.amdhsa_exception_int_div_zero 0
	.end_amdhsa_kernel
	.text
.Lfunc_end0:
	.size	fft_rtc_fwd_len968_factors_2_2_2_11_11_wgs_176_tpt_88_dp_ip_CI_unitstride_sbrr_C2R_dirReg, .Lfunc_end0-fft_rtc_fwd_len968_factors_2_2_2_11_11_wgs_176_tpt_88_dp_ip_CI_unitstride_sbrr_C2R_dirReg
                                        ; -- End function
	.section	.AMDGPU.csdata,"",@progbits
; Kernel info:
; codeLenInByte = 11712
; NumSgprs: 34
; NumVgprs: 243
; ScratchSize: 0
; MemoryBound: 0
; FloatMode: 240
; IeeeMode: 1
; LDSByteSize: 0 bytes/workgroup (compile time only)
; SGPRBlocks: 4
; VGPRBlocks: 30
; NumSGPRsForWavesPerEU: 34
; NumVGPRsForWavesPerEU: 243
; Occupancy: 4
; WaveLimiterHint : 1
; COMPUTE_PGM_RSRC2:SCRATCH_EN: 0
; COMPUTE_PGM_RSRC2:USER_SGPR: 6
; COMPUTE_PGM_RSRC2:TRAP_HANDLER: 0
; COMPUTE_PGM_RSRC2:TGID_X_EN: 1
; COMPUTE_PGM_RSRC2:TGID_Y_EN: 0
; COMPUTE_PGM_RSRC2:TGID_Z_EN: 0
; COMPUTE_PGM_RSRC2:TIDIG_COMP_CNT: 0
	.text
	.p2alignl 6, 3214868480
	.fill 48, 4, 3214868480
	.type	__hip_cuid_50c7399adcc4572b,@object ; @__hip_cuid_50c7399adcc4572b
	.section	.bss,"aw",@nobits
	.globl	__hip_cuid_50c7399adcc4572b
__hip_cuid_50c7399adcc4572b:
	.byte	0                               ; 0x0
	.size	__hip_cuid_50c7399adcc4572b, 1

	.ident	"AMD clang version 19.0.0git (https://github.com/RadeonOpenCompute/llvm-project roc-6.4.0 25133 c7fe45cf4b819c5991fe208aaa96edf142730f1d)"
	.section	".note.GNU-stack","",@progbits
	.addrsig
	.addrsig_sym __hip_cuid_50c7399adcc4572b
	.amdgpu_metadata
---
amdhsa.kernels:
  - .args:
      - .actual_access:  read_only
        .address_space:  global
        .offset:         0
        .size:           8
        .value_kind:     global_buffer
      - .offset:         8
        .size:           8
        .value_kind:     by_value
      - .actual_access:  read_only
        .address_space:  global
        .offset:         16
        .size:           8
        .value_kind:     global_buffer
      - .actual_access:  read_only
        .address_space:  global
        .offset:         24
        .size:           8
        .value_kind:     global_buffer
      - .offset:         32
        .size:           8
        .value_kind:     by_value
      - .actual_access:  read_only
        .address_space:  global
        .offset:         40
        .size:           8
        .value_kind:     global_buffer
      - .actual_access:  read_only
        .address_space:  global
        .offset:         48
        .size:           8
        .value_kind:     global_buffer
      - .offset:         56
        .size:           4
        .value_kind:     by_value
      - .actual_access:  read_only
        .address_space:  global
        .offset:         64
        .size:           8
        .value_kind:     global_buffer
      - .actual_access:  read_only
        .address_space:  global
        .offset:         72
        .size:           8
        .value_kind:     global_buffer
      - .address_space:  global
        .offset:         80
        .size:           8
        .value_kind:     global_buffer
    .group_segment_fixed_size: 0
    .kernarg_segment_align: 8
    .kernarg_segment_size: 88
    .language:       OpenCL C
    .language_version:
      - 2
      - 0
    .max_flat_workgroup_size: 176
    .name:           fft_rtc_fwd_len968_factors_2_2_2_11_11_wgs_176_tpt_88_dp_ip_CI_unitstride_sbrr_C2R_dirReg
    .private_segment_fixed_size: 0
    .sgpr_count:     34
    .sgpr_spill_count: 0
    .symbol:         fft_rtc_fwd_len968_factors_2_2_2_11_11_wgs_176_tpt_88_dp_ip_CI_unitstride_sbrr_C2R_dirReg.kd
    .uniform_work_group_size: 1
    .uses_dynamic_stack: false
    .vgpr_count:     243
    .vgpr_spill_count: 0
    .wavefront_size: 32
    .workgroup_processor_mode: 1
amdhsa.target:   amdgcn-amd-amdhsa--gfx1030
amdhsa.version:
  - 1
  - 2
...

	.end_amdgpu_metadata
